;; amdgpu-corpus repo=llvm/llvm-project kind=harvested arch=n/a opt=n/a
// NOTE: Assertions have been autogenerated by utils/update_mc_test_checks.py UTC_ARGS: --unique --sort --version 6
// RUN: not llvm-mc -triple=amdgcn -mcpu=gfx1100 -mattr=-real-true16 -filetype=null %s 2>&1 | FileCheck --check-prefix=GFX11 --implicit-check-not=error: %s

v_fmaak_f16 v0, 0xff32, v0, 0
// GFX11: :[[@LINE-1]]:29: error: only one unique literal operand is allowed

v_fmaak_f32 v0, 0xff32, v0, 0
// GFX11: :[[@LINE-1]]:29: error: only one unique literal operand is allowed

v_fmamk_f16 v0, 0xff32, 1, v0
// GFX11: :[[@LINE-1]]:25: error: only one unique literal operand is allowed

v_fmamk_f32 v0, 0xff32, 1, v0
// GFX11: :[[@LINE-1]]:25: error: only one unique literal operand is allowed
